;; amdgpu-corpus repo=ROCm/rocFFT kind=compiled arch=gfx906 opt=O3
	.text
	.amdgcn_target "amdgcn-amd-amdhsa--gfx906"
	.amdhsa_code_object_version 6
	.protected	fft_rtc_fwd_len702_factors_13_3_6_3_wgs_117_tpt_117_halfLds_sp_ip_CI_unitstride_sbrr_C2R_dirReg ; -- Begin function fft_rtc_fwd_len702_factors_13_3_6_3_wgs_117_tpt_117_halfLds_sp_ip_CI_unitstride_sbrr_C2R_dirReg
	.globl	fft_rtc_fwd_len702_factors_13_3_6_3_wgs_117_tpt_117_halfLds_sp_ip_CI_unitstride_sbrr_C2R_dirReg
	.p2align	8
	.type	fft_rtc_fwd_len702_factors_13_3_6_3_wgs_117_tpt_117_halfLds_sp_ip_CI_unitstride_sbrr_C2R_dirReg,@function
fft_rtc_fwd_len702_factors_13_3_6_3_wgs_117_tpt_117_halfLds_sp_ip_CI_unitstride_sbrr_C2R_dirReg: ; @fft_rtc_fwd_len702_factors_13_3_6_3_wgs_117_tpt_117_halfLds_sp_ip_CI_unitstride_sbrr_C2R_dirReg
; %bb.0:
	s_load_dwordx2 s[2:3], s[4:5], 0x50
	s_load_dwordx4 s[8:11], s[4:5], 0x0
	s_load_dwordx2 s[12:13], s[4:5], 0x18
	v_mul_u32_u24_e32 v1, 0x231, v0
	v_add_u32_sdwa v5, s6, v1 dst_sel:DWORD dst_unused:UNUSED_PAD src0_sel:DWORD src1_sel:WORD_1
	v_mov_b32_e32 v3, 0
	s_waitcnt lgkmcnt(0)
	v_cmp_lt_u64_e64 s[0:1], s[10:11], 2
	v_mov_b32_e32 v1, 0
	v_mov_b32_e32 v6, v3
	s_and_b64 vcc, exec, s[0:1]
	v_mov_b32_e32 v2, 0
	s_cbranch_vccnz .LBB0_8
; %bb.1:
	s_load_dwordx2 s[0:1], s[4:5], 0x10
	s_add_u32 s6, s12, 8
	s_addc_u32 s7, s13, 0
	v_mov_b32_e32 v1, 0
	v_mov_b32_e32 v2, 0
	s_waitcnt lgkmcnt(0)
	s_add_u32 s14, s0, 8
	s_addc_u32 s15, s1, 0
	s_mov_b64 s[16:17], 1
.LBB0_2:                                ; =>This Inner Loop Header: Depth=1
	s_load_dwordx2 s[18:19], s[14:15], 0x0
                                        ; implicit-def: $vgpr7_vgpr8
	s_waitcnt lgkmcnt(0)
	v_or_b32_e32 v4, s19, v6
	v_cmp_ne_u64_e32 vcc, 0, v[3:4]
	s_and_saveexec_b64 s[0:1], vcc
	s_xor_b64 s[20:21], exec, s[0:1]
	s_cbranch_execz .LBB0_4
; %bb.3:                                ;   in Loop: Header=BB0_2 Depth=1
	v_cvt_f32_u32_e32 v4, s18
	v_cvt_f32_u32_e32 v7, s19
	s_sub_u32 s0, 0, s18
	s_subb_u32 s1, 0, s19
	v_mac_f32_e32 v4, 0x4f800000, v7
	v_rcp_f32_e32 v4, v4
	v_mul_f32_e32 v4, 0x5f7ffffc, v4
	v_mul_f32_e32 v7, 0x2f800000, v4
	v_trunc_f32_e32 v7, v7
	v_mac_f32_e32 v4, 0xcf800000, v7
	v_cvt_u32_f32_e32 v7, v7
	v_cvt_u32_f32_e32 v4, v4
	v_mul_lo_u32 v8, s0, v7
	v_mul_hi_u32 v9, s0, v4
	v_mul_lo_u32 v11, s1, v4
	v_mul_lo_u32 v10, s0, v4
	v_add_u32_e32 v8, v9, v8
	v_add_u32_e32 v8, v8, v11
	v_mul_hi_u32 v9, v4, v10
	v_mul_lo_u32 v11, v4, v8
	v_mul_hi_u32 v13, v4, v8
	v_mul_hi_u32 v12, v7, v10
	v_mul_lo_u32 v10, v7, v10
	v_mul_hi_u32 v14, v7, v8
	v_add_co_u32_e32 v9, vcc, v9, v11
	v_addc_co_u32_e32 v11, vcc, 0, v13, vcc
	v_mul_lo_u32 v8, v7, v8
	v_add_co_u32_e32 v9, vcc, v9, v10
	v_addc_co_u32_e32 v9, vcc, v11, v12, vcc
	v_addc_co_u32_e32 v10, vcc, 0, v14, vcc
	v_add_co_u32_e32 v8, vcc, v9, v8
	v_addc_co_u32_e32 v9, vcc, 0, v10, vcc
	v_add_co_u32_e32 v4, vcc, v4, v8
	v_addc_co_u32_e32 v7, vcc, v7, v9, vcc
	v_mul_lo_u32 v8, s0, v7
	v_mul_hi_u32 v9, s0, v4
	v_mul_lo_u32 v10, s1, v4
	v_mul_lo_u32 v11, s0, v4
	v_add_u32_e32 v8, v9, v8
	v_add_u32_e32 v8, v8, v10
	v_mul_lo_u32 v12, v4, v8
	v_mul_hi_u32 v13, v4, v11
	v_mul_hi_u32 v14, v4, v8
	;; [unrolled: 1-line block ×3, first 2 shown]
	v_mul_lo_u32 v11, v7, v11
	v_mul_hi_u32 v9, v7, v8
	v_add_co_u32_e32 v12, vcc, v13, v12
	v_addc_co_u32_e32 v13, vcc, 0, v14, vcc
	v_mul_lo_u32 v8, v7, v8
	v_add_co_u32_e32 v11, vcc, v12, v11
	v_addc_co_u32_e32 v10, vcc, v13, v10, vcc
	v_addc_co_u32_e32 v9, vcc, 0, v9, vcc
	v_add_co_u32_e32 v8, vcc, v10, v8
	v_addc_co_u32_e32 v9, vcc, 0, v9, vcc
	v_add_co_u32_e32 v4, vcc, v4, v8
	v_addc_co_u32_e32 v9, vcc, v7, v9, vcc
	v_mad_u64_u32 v[7:8], s[0:1], v5, v9, 0
	v_mul_hi_u32 v10, v5, v4
	v_add_co_u32_e32 v11, vcc, v10, v7
	v_addc_co_u32_e32 v12, vcc, 0, v8, vcc
	v_mad_u64_u32 v[7:8], s[0:1], v6, v4, 0
	v_mad_u64_u32 v[9:10], s[0:1], v6, v9, 0
	v_add_co_u32_e32 v4, vcc, v11, v7
	v_addc_co_u32_e32 v4, vcc, v12, v8, vcc
	v_addc_co_u32_e32 v7, vcc, 0, v10, vcc
	v_add_co_u32_e32 v4, vcc, v4, v9
	v_addc_co_u32_e32 v9, vcc, 0, v7, vcc
	v_mul_lo_u32 v10, s19, v4
	v_mul_lo_u32 v11, s18, v9
	v_mad_u64_u32 v[7:8], s[0:1], s18, v4, 0
	v_add3_u32 v8, v8, v11, v10
	v_sub_u32_e32 v10, v6, v8
	v_mov_b32_e32 v11, s19
	v_sub_co_u32_e32 v7, vcc, v5, v7
	v_subb_co_u32_e64 v10, s[0:1], v10, v11, vcc
	v_subrev_co_u32_e64 v11, s[0:1], s18, v7
	v_subbrev_co_u32_e64 v10, s[0:1], 0, v10, s[0:1]
	v_cmp_le_u32_e64 s[0:1], s19, v10
	v_cndmask_b32_e64 v12, 0, -1, s[0:1]
	v_cmp_le_u32_e64 s[0:1], s18, v11
	v_cndmask_b32_e64 v11, 0, -1, s[0:1]
	v_cmp_eq_u32_e64 s[0:1], s19, v10
	v_cndmask_b32_e64 v10, v12, v11, s[0:1]
	v_add_co_u32_e64 v11, s[0:1], 2, v4
	v_addc_co_u32_e64 v12, s[0:1], 0, v9, s[0:1]
	v_add_co_u32_e64 v13, s[0:1], 1, v4
	v_addc_co_u32_e64 v14, s[0:1], 0, v9, s[0:1]
	v_subb_co_u32_e32 v8, vcc, v6, v8, vcc
	v_cmp_ne_u32_e64 s[0:1], 0, v10
	v_cmp_le_u32_e32 vcc, s19, v8
	v_cndmask_b32_e64 v10, v14, v12, s[0:1]
	v_cndmask_b32_e64 v12, 0, -1, vcc
	v_cmp_le_u32_e32 vcc, s18, v7
	v_cndmask_b32_e64 v7, 0, -1, vcc
	v_cmp_eq_u32_e32 vcc, s19, v8
	v_cndmask_b32_e32 v7, v12, v7, vcc
	v_cmp_ne_u32_e32 vcc, 0, v7
	v_cndmask_b32_e64 v7, v13, v11, s[0:1]
	v_cndmask_b32_e32 v8, v9, v10, vcc
	v_cndmask_b32_e32 v7, v4, v7, vcc
.LBB0_4:                                ;   in Loop: Header=BB0_2 Depth=1
	s_andn2_saveexec_b64 s[0:1], s[20:21]
	s_cbranch_execz .LBB0_6
; %bb.5:                                ;   in Loop: Header=BB0_2 Depth=1
	v_cvt_f32_u32_e32 v4, s18
	s_sub_i32 s20, 0, s18
	v_rcp_iflag_f32_e32 v4, v4
	v_mul_f32_e32 v4, 0x4f7ffffe, v4
	v_cvt_u32_f32_e32 v4, v4
	v_mul_lo_u32 v7, s20, v4
	v_mul_hi_u32 v7, v4, v7
	v_add_u32_e32 v4, v4, v7
	v_mul_hi_u32 v4, v5, v4
	v_mul_lo_u32 v7, v4, s18
	v_add_u32_e32 v8, 1, v4
	v_sub_u32_e32 v7, v5, v7
	v_subrev_u32_e32 v9, s18, v7
	v_cmp_le_u32_e32 vcc, s18, v7
	v_cndmask_b32_e32 v7, v7, v9, vcc
	v_cndmask_b32_e32 v4, v4, v8, vcc
	v_add_u32_e32 v8, 1, v4
	v_cmp_le_u32_e32 vcc, s18, v7
	v_cndmask_b32_e32 v7, v4, v8, vcc
	v_mov_b32_e32 v8, v3
.LBB0_6:                                ;   in Loop: Header=BB0_2 Depth=1
	s_or_b64 exec, exec, s[0:1]
	v_mul_lo_u32 v4, v8, s18
	v_mul_lo_u32 v11, v7, s19
	v_mad_u64_u32 v[9:10], s[0:1], v7, s18, 0
	s_load_dwordx2 s[0:1], s[6:7], 0x0
	s_add_u32 s16, s16, 1
	v_add3_u32 v4, v10, v11, v4
	v_sub_co_u32_e32 v5, vcc, v5, v9
	v_subb_co_u32_e32 v4, vcc, v6, v4, vcc
	s_waitcnt lgkmcnt(0)
	v_mul_lo_u32 v4, s0, v4
	v_mul_lo_u32 v6, s1, v5
	v_mad_u64_u32 v[1:2], s[0:1], s0, v5, v[1:2]
	s_addc_u32 s17, s17, 0
	s_add_u32 s6, s6, 8
	v_add3_u32 v2, v6, v2, v4
	v_mov_b32_e32 v4, s10
	v_mov_b32_e32 v5, s11
	s_addc_u32 s7, s7, 0
	v_cmp_ge_u64_e32 vcc, s[16:17], v[4:5]
	s_add_u32 s14, s14, 8
	s_addc_u32 s15, s15, 0
	s_cbranch_vccnz .LBB0_9
; %bb.7:                                ;   in Loop: Header=BB0_2 Depth=1
	v_mov_b32_e32 v5, v7
	v_mov_b32_e32 v6, v8
	s_branch .LBB0_2
.LBB0_8:
	v_mov_b32_e32 v8, v6
	v_mov_b32_e32 v7, v5
.LBB0_9:
	s_lshl_b64 s[0:1], s[10:11], 3
	s_add_u32 s0, s12, s0
	s_addc_u32 s1, s13, s1
	s_load_dwordx2 s[6:7], s[0:1], 0x0
	s_load_dwordx2 s[10:11], s[4:5], 0x20
	s_waitcnt lgkmcnt(0)
	v_mad_u64_u32 v[1:2], s[0:1], s6, v7, v[1:2]
	v_mul_lo_u32 v3, s6, v8
	v_mul_lo_u32 v4, s7, v7
	s_mov_b32 s0, 0x2302303
	v_mul_hi_u32 v5, v0, s0
	v_cmp_gt_u64_e64 s[0:1], s[10:11], v[7:8]
	v_add3_u32 v2, v4, v2, v3
	v_lshlrev_b64 v[26:27], 3, v[1:2]
	v_mul_u32_u24_e32 v3, 0x75, v5
	v_sub_u32_e32 v24, v0, v3
	s_and_saveexec_b64 s[4:5], s[0:1]
	s_cbranch_execz .LBB0_13
; %bb.10:
	v_mov_b32_e32 v25, 0
	v_mov_b32_e32 v0, s3
	v_add_co_u32_e32 v1, vcc, s2, v26
	v_lshlrev_b64 v[2:3], 3, v[24:25]
	v_addc_co_u32_e32 v0, vcc, v0, v27, vcc
	v_add_co_u32_e32 v2, vcc, v1, v2
	v_addc_co_u32_e32 v3, vcc, v0, v3, vcc
	v_add_co_u32_e32 v12, vcc, 0x1000, v2
	global_load_dwordx2 v[4:5], v[2:3], off
	global_load_dwordx2 v[6:7], v[2:3], off offset:936
	global_load_dwordx2 v[8:9], v[2:3], off offset:1872
	global_load_dwordx2 v[10:11], v[2:3], off offset:2808
	v_addc_co_u32_e32 v13, vcc, 0, v3, vcc
	global_load_dwordx2 v[14:15], v[2:3], off offset:3744
	global_load_dwordx2 v[16:17], v[12:13], off offset:584
	s_movk_i32 s6, 0x74
	v_lshl_add_u32 v2, v24, 3, 0
	v_cmp_eq_u32_e32 vcc, s6, v24
	v_add_u32_e32 v3, 0x400, v2
	v_add_u32_e32 v12, 0xc00, v2
	s_waitcnt vmcnt(4)
	ds_write2_b64 v2, v[4:5], v[6:7] offset1:117
	s_waitcnt vmcnt(2)
	ds_write2_b64 v3, v[8:9], v[10:11] offset0:106 offset1:223
	s_waitcnt vmcnt(0)
	ds_write2_b64 v12, v[14:15], v[16:17] offset0:84 offset1:201
	s_and_saveexec_b64 s[6:7], vcc
	s_cbranch_execz .LBB0_12
; %bb.11:
	v_add_co_u32_e32 v1, vcc, 0x1000, v1
	v_addc_co_u32_e32 v2, vcc, 0, v0, vcc
	global_load_dwordx2 v[0:1], v[1:2], off offset:1520
	v_mov_b32_e32 v24, 0x74
	s_waitcnt vmcnt(0)
	ds_write_b64 v25, v[0:1] offset:5616
.LBB0_12:
	s_or_b64 exec, exec, s[6:7]
.LBB0_13:
	s_or_b64 exec, exec, s[4:5]
	v_lshlrev_b32_e32 v0, 3, v24
	v_add_u32_e32 v30, 0, v0
	s_waitcnt lgkmcnt(0)
	s_barrier
	v_sub_u32_e32 v4, 0, v0
	ds_read_b32 v5, v30
	ds_read_b32 v6, v4 offset:5616
	s_add_u32 s6, s8, 0x1588
	s_addc_u32 s7, s9, 0
	v_cmp_ne_u32_e32 vcc, 0, v24
                                        ; implicit-def: $vgpr2_vgpr3
	s_waitcnt lgkmcnt(0)
	v_add_f32_e32 v0, v6, v5
	v_sub_f32_e32 v1, v5, v6
	s_and_saveexec_b64 s[4:5], vcc
	s_xor_b64 s[4:5], exec, s[4:5]
	s_cbranch_execz .LBB0_15
; %bb.14:
	v_mov_b32_e32 v25, 0
	v_lshlrev_b64 v[0:1], 3, v[24:25]
	v_mov_b32_e32 v2, s7
	v_add_co_u32_e32 v0, vcc, s6, v0
	v_addc_co_u32_e32 v1, vcc, v2, v1, vcc
	global_load_dwordx2 v[2:3], v[0:1], off
	ds_read_b32 v0, v4 offset:5620
	ds_read_b32 v1, v30 offset:4
	v_add_f32_e32 v7, v6, v5
	v_sub_f32_e32 v8, v5, v6
	s_waitcnt lgkmcnt(0)
	v_add_f32_e32 v9, v0, v1
	v_sub_f32_e32 v0, v1, v0
	s_waitcnt vmcnt(0)
	v_fma_f32 v10, v8, v3, v7
	v_fma_f32 v1, v9, v3, v0
	v_fma_f32 v5, -v8, v3, v7
	v_fma_f32 v6, v9, v3, -v0
	v_fma_f32 v0, -v2, v9, v10
	v_fmac_f32_e32 v1, v8, v2
	v_fmac_f32_e32 v5, v2, v9
	;; [unrolled: 1-line block ×3, first 2 shown]
	v_mov_b32_e32 v2, v24
	ds_write_b64 v4, v[5:6] offset:5616
	v_mov_b32_e32 v3, v25
.LBB0_15:
	s_andn2_saveexec_b64 s[4:5], s[4:5]
	s_cbranch_execz .LBB0_17
; %bb.16:
	v_mov_b32_e32 v7, 0
	ds_read_b64 v[2:3], v7 offset:2808
	s_waitcnt lgkmcnt(0)
	v_add_f32_e32 v5, v2, v2
	v_mul_f32_e32 v6, -2.0, v3
	v_mov_b32_e32 v2, 0
	v_mov_b32_e32 v3, 0
	ds_write_b64 v7, v[5:6] offset:2808
.LBB0_17:
	s_or_b64 exec, exec, s[4:5]
	v_lshlrev_b64 v[2:3], 3, v[2:3]
	v_mov_b32_e32 v5, s7
	v_add_co_u32_e32 v2, vcc, s6, v2
	v_addc_co_u32_e32 v3, vcc, v5, v3, vcc
	global_load_dwordx2 v[5:6], v[2:3], off offset:936
	global_load_dwordx2 v[7:8], v[2:3], off offset:1872
	ds_write_b64 v30, v[0:1]
	ds_read_b64 v[0:1], v30 offset:936
	ds_read_b64 v[2:3], v4 offset:4680
	v_add_u32_e32 v25, 0x400, v30
	v_add_u32_e32 v31, 0x800, v30
	v_cmp_gt_u32_e32 vcc, 54, v24
	s_waitcnt lgkmcnt(0)
	v_add_f32_e32 v9, v0, v2
	v_add_f32_e32 v10, v3, v1
	v_sub_f32_e32 v11, v0, v2
	v_sub_f32_e32 v0, v1, v3
	s_waitcnt vmcnt(1)
	v_fma_f32 v12, v11, v6, v9
	v_fma_f32 v1, v10, v6, v0
	v_fma_f32 v2, -v11, v6, v9
	v_fma_f32 v3, v10, v6, -v0
	v_fma_f32 v0, -v5, v10, v12
	v_fmac_f32_e32 v1, v11, v5
	v_fmac_f32_e32 v2, v5, v10
	v_fmac_f32_e32 v3, v11, v5
	ds_write_b64 v30, v[0:1] offset:936
	ds_write_b64 v4, v[2:3] offset:4680
	ds_read_b64 v[0:1], v30 offset:1872
	ds_read_b64 v[2:3], v4 offset:3744
	v_add_u32_e32 v12, 0x1000, v30
	s_waitcnt lgkmcnt(0)
	v_add_f32_e32 v5, v0, v2
	v_add_f32_e32 v6, v3, v1
	v_sub_f32_e32 v9, v0, v2
	v_sub_f32_e32 v0, v1, v3
	s_waitcnt vmcnt(0)
	v_fma_f32 v10, v9, v8, v5
	v_fma_f32 v1, v6, v8, v0
	v_fma_f32 v2, -v9, v8, v5
	v_fma_f32 v3, v6, v8, -v0
	v_fma_f32 v0, -v7, v6, v10
	v_fmac_f32_e32 v1, v9, v7
	v_fmac_f32_e32 v2, v7, v6
	;; [unrolled: 1-line block ×3, first 2 shown]
	ds_write_b64 v30, v[0:1] offset:1872
	ds_write_b64 v4, v[2:3] offset:3744
	s_waitcnt lgkmcnt(0)
	s_barrier
	s_barrier
	ds_read2_b64 v[4:7], v30 offset1:54
	ds_read2_b64 v[8:11], v30 offset0:108 offset1:162
	ds_read2_b64 v[20:23], v25 offset0:88 offset1:142
	;; [unrolled: 1-line block ×4, first 2 shown]
	ds_read_b64 v[28:29], v30 offset:5184
	ds_read2_b64 v[12:15], v12 offset0:28 offset1:82
	s_waitcnt lgkmcnt(0)
	s_barrier
	s_and_saveexec_b64 s[4:5], vcc
	s_cbranch_execz .LBB0_19
; %bb.18:
	v_add_f32_e32 v33, v5, v7
	v_add_f32_e32 v33, v33, v9
	;; [unrolled: 1-line block ×9, first 2 shown]
	v_sub_f32_e32 v32, v20, v18
	v_add_f32_e32 v37, v33, v22
	v_sub_f32_e32 v38, v22, v16
	v_add_f32_e32 v35, v17, v23
	v_add_f32_e32 v33, v18, v20
	;; [unrolled: 1-line block ×3, first 2 shown]
	v_sub_f32_e32 v22, v23, v17
	v_add_f32_e32 v23, v36, v1
	v_add_f32_e32 v23, v23, v3
	;; [unrolled: 1-line block ×4, first 2 shown]
	v_sub_f32_e32 v21, v21, v19
	v_add_f32_e32 v19, v17, v19
	v_add_f32_e32 v17, v37, v0
	;; [unrolled: 1-line block ×7, first 2 shown]
	v_sub_f32_e32 v39, v9, v15
	v_sub_f32_e32 v40, v11, v13
	v_add_f32_e32 v9, v19, v13
	v_sub_f32_e32 v11, v6, v28
	v_sub_f32_e32 v36, v8, v14
	;; [unrolled: 1-line block ×3, first 2 shown]
	v_add_f32_e32 v16, v14, v8
	v_add_f32_e32 v8, v12, v10
	;; [unrolled: 1-line block ×4, first 2 shown]
	v_mul_f32_e32 v12, 0xbe750f2a, v11
	v_mul_f32_e32 v15, 0xbf29c268, v11
	v_mul_f32_e32 v23, 0xbf6f5d39, v11
	v_mul_f32_e32 v42, 0xbf7e222b, v11
	v_mul_f32_e32 v44, 0xbf52af12, v11
	v_mul_f32_e32 v11, 0xbeedf032, v11
	v_add_f32_e32 v10, v10, v14
	s_mov_b32 s6, 0xbf788fa5
	v_add_f32_e32 v13, v29, v7
	v_mov_b32_e32 v14, v12
	s_mov_b32 s13, 0x3f62ad3f
	s_mov_b32 s7, 0xbf3f9e67
	;; [unrolled: 1-line block ×5, first 2 shown]
	v_mov_b32_e32 v19, v15
	v_mov_b32_e32 v41, v23
	;; [unrolled: 1-line block ×5, first 2 shown]
	v_sub_f32_e32 v7, v7, v29
	v_fmac_f32_e32 v14, 0xbf788fa5, v13
	v_fmac_f32_e32 v19, 0xbf3f9e67, v13
	v_fmac_f32_e32 v41, 0xbeb58ec6, v13
	v_fmac_f32_e32 v43, 0x3df6dbef, v13
	v_fmac_f32_e32 v45, 0x3f116cb1, v13
	v_fmac_f32_e32 v46, 0x3f62ad3f, v13
	v_fma_f32 v12, v13, s6, -v12
	v_fma_f32 v15, v13, s7, -v15
	;; [unrolled: 1-line block ×6, first 2 shown]
	v_mul_f32_e32 v13, 0xbe750f2a, v7
	v_add_f32_e32 v6, v28, v6
	v_fma_f32 v51, v6, s6, -v13
	v_fmac_f32_e32 v13, 0xbf788fa5, v6
	v_add_f32_e32 v57, v4, v13
	v_sub_f32_e32 v13, v0, v2
	v_add_f32_e32 v61, v2, v0
	v_add_f32_e32 v0, v10, v28
	v_mul_f32_e32 v28, 0x3eedf032, v36
	v_mul_f32_e32 v47, 0xbf29c268, v7
	;; [unrolled: 1-line block ×6, first 2 shown]
	v_add_f32_e32 v60, v3, v1
	v_sub_f32_e32 v62, v1, v3
	v_add_f32_e32 v1, v9, v29
	v_mov_b32_e32 v2, v28
	v_mul_f32_e32 v29, 0xbf29c268, v37
	v_fma_f32 v52, v6, s7, -v47
	v_fmac_f32_e32 v47, 0xbf3f9e67, v6
	v_fma_f32 v53, v6, s10, -v48
	v_fmac_f32_e32 v48, 0xbeb58ec6, v6
	;; [unrolled: 2-line block ×5, first 2 shown]
	v_add_f32_e32 v6, v5, v14
	v_fmac_f32_e32 v2, 0x3f62ad3f, v17
	v_mov_b32_e32 v3, v29
	v_add_f32_e32 v2, v2, v6
	v_fmac_f32_e32 v3, 0xbf3f9e67, v18
	v_mul_f32_e32 v63, 0x3f52af12, v32
	v_add_f32_e32 v2, v3, v2
	v_mov_b32_e32 v3, v63
	v_fmac_f32_e32 v3, 0x3f116cb1, v34
	v_mul_f32_e32 v64, 0xbf6f5d39, v38
	v_add_f32_e32 v2, v3, v2
	v_mov_b32_e32 v3, v64
	v_fmac_f32_e32 v3, 0xbeb58ec6, v35
	v_mul_f32_e32 v65, 0x3eedf032, v39
	v_add_f32_e32 v14, v4, v51
	v_add_f32_e32 v2, v3, v2
	v_fma_f32 v3, v16, s13, -v65
	v_mul_f32_e32 v66, 0xbf29c268, v40
	v_add_f32_e32 v51, v4, v52
	v_add_f32_e32 v52, v4, v53
	;; [unrolled: 1-line block ×11, first 2 shown]
	v_fma_f32 v4, v8, s7, -v66
	v_mul_f32_e32 v67, 0x3f52af12, v21
	v_add_f32_e32 v3, v4, v3
	v_fma_f32 v4, v33, s11, -v67
	v_mul_f32_e32 v68, 0xbf6f5d39, v22
	v_add_f32_e32 v3, v4, v3
	;; [unrolled: 3-line block ×3, first 2 shown]
	v_mov_b32_e32 v3, v69
	v_fmac_f32_e32 v3, 0x3df6dbef, v60
	v_mul_f32_e32 v70, 0x3f7e222b, v62
	v_add_f32_e32 v3, v3, v2
	v_fma_f32 v2, v61, s12, -v70
	v_mul_f32_e32 v71, 0x3f7e222b, v36
	v_add_f32_e32 v2, v2, v4
	v_mov_b32_e32 v4, v71
	v_add_f32_e32 v19, v5, v19
	v_fmac_f32_e32 v4, 0x3df6dbef, v17
	v_add_f32_e32 v4, v4, v19
	v_mul_f32_e32 v19, 0xbf52af12, v37
	v_add_f32_e32 v41, v5, v41
	v_add_f32_e32 v43, v5, v43
	;; [unrolled: 1-line block ×10, first 2 shown]
	v_mov_b32_e32 v5, v19
	v_fmac_f32_e32 v5, 0x3f116cb1, v18
	v_mul_f32_e32 v72, 0x3e750f2a, v32
	v_add_f32_e32 v4, v5, v4
	v_mov_b32_e32 v5, v72
	v_fmac_f32_e32 v5, 0xbf788fa5, v34
	v_mul_f32_e32 v73, 0x3eedf032, v38
	v_add_f32_e32 v4, v5, v4
	v_mov_b32_e32 v5, v73
	v_fmac_f32_e32 v5, 0x3f62ad3f, v35
	v_mul_f32_e32 v74, 0x3f7e222b, v39
	v_add_f32_e32 v4, v5, v4
	v_fma_f32 v5, v16, s12, -v74
	v_add_f32_e32 v5, v5, v51
	v_mul_f32_e32 v51, 0xbf52af12, v40
	v_fma_f32 v6, v8, s11, -v51
	v_mul_f32_e32 v75, 0x3e750f2a, v21
	v_add_f32_e32 v5, v6, v5
	v_fma_f32 v6, v33, s6, -v75
	v_mul_f32_e32 v76, 0x3eedf032, v22
	v_add_f32_e32 v5, v6, v5
	v_fma_f32 v6, v20, s13, -v76
	v_mul_f32_e32 v77, 0xbf6f5d39, v13
	v_add_f32_e32 v6, v6, v5
	v_mov_b32_e32 v5, v77
	v_fmac_f32_e32 v5, 0xbeb58ec6, v60
	v_mul_f32_e32 v78, 0xbf6f5d39, v62
	v_add_f32_e32 v5, v5, v4
	v_fma_f32 v4, v61, s10, -v78
	v_mul_f32_e32 v79, 0x3f29c268, v36
	v_add_f32_e32 v4, v4, v6
	v_mov_b32_e32 v6, v79
	v_fmac_f32_e32 v6, 0xbf3f9e67, v17
	v_add_f32_e32 v6, v6, v41
	v_mul_f32_e32 v41, 0x3eedf032, v37
	v_mov_b32_e32 v7, v41
	v_fmac_f32_e32 v7, 0x3f62ad3f, v18
	v_mul_f32_e32 v80, 0xbf7e222b, v32
	v_add_f32_e32 v6, v7, v6
	v_mov_b32_e32 v7, v80
	v_fmac_f32_e32 v7, 0x3df6dbef, v34
	v_mul_f32_e32 v81, 0x3e750f2a, v38
	v_add_f32_e32 v6, v7, v6
	v_mov_b32_e32 v7, v81
	v_fmac_f32_e32 v7, 0xbf788fa5, v35
	v_mul_f32_e32 v82, 0x3f29c268, v39
	v_add_f32_e32 v6, v7, v6
	v_fma_f32 v7, v16, s7, -v82
	v_add_f32_e32 v7, v7, v52
	v_mul_f32_e32 v52, 0x3eedf032, v40
	v_fma_f32 v9, v8, s13, -v52
	v_mul_f32_e32 v83, 0xbf7e222b, v21
	v_add_f32_e32 v7, v9, v7
	v_fma_f32 v9, v33, s12, -v83
	v_mul_f32_e32 v84, 0x3e750f2a, v22
	v_add_f32_e32 v7, v9, v7
	v_fma_f32 v9, v20, s6, -v84
	v_mul_f32_e32 v85, 0x3f52af12, v13
	v_add_f32_e32 v9, v9, v7
	v_mov_b32_e32 v7, v85
	v_fmac_f32_e32 v7, 0x3f116cb1, v60
	v_mul_f32_e32 v86, 0x3f52af12, v62
	v_add_f32_e32 v7, v7, v6
	v_fma_f32 v6, v61, s11, -v86
	v_mul_f32_e32 v87, 0xbe750f2a, v36
	v_add_f32_e32 v6, v6, v9
	v_mov_b32_e32 v9, v87
	v_fmac_f32_e32 v9, 0xbf788fa5, v17
	v_add_f32_e32 v9, v9, v43
	v_mul_f32_e32 v43, 0x3f6f5d39, v37
	;; [unrolled: 35-line block ×4, first 2 shown]
	v_mov_b32_e32 v36, v46
	v_fmac_f32_e32 v36, 0x3df6dbef, v18
	v_mul_f32_e32 v32, 0xbf6f5d39, v32
	v_add_f32_e32 v14, v36, v14
	v_mov_b32_e32 v36, v32
	v_fmac_f32_e32 v36, 0xbeb58ec6, v34
	v_mul_f32_e32 v104, 0xbf29c268, v38
	v_add_f32_e32 v14, v36, v14
	;; [unrolled: 4-line block ×3, first 2 shown]
	v_fma_f32 v36, v16, s11, -v105
	v_add_f32_e32 v36, v36, v55
	v_mul_f32_e32 v55, 0xbf7e222b, v40
	v_fma_f32 v37, v8, s12, -v55
	v_mul_f32_e32 v106, 0xbf6f5d39, v21
	v_mul_f32_e32 v108, 0xbe750f2a, v13
	v_add_f32_e32 v36, v37, v36
	v_fma_f32 v21, v33, s10, -v106
	v_mul_f32_e32 v107, 0xbf29c268, v22
	v_mov_b32_e32 v13, v108
	v_add_f32_e32 v21, v21, v36
	v_fma_f32 v22, v20, s7, -v107
	v_fmac_f32_e32 v13, 0xbf788fa5, v60
	v_mul_f32_e32 v62, 0xbe750f2a, v62
	v_add_f32_e32 v21, v22, v21
	v_add_f32_e32 v14, v13, v14
	v_fma_f32 v13, v61, s6, -v62
	v_add_f32_e32 v13, v13, v21
	v_fma_f32 v21, v17, s13, -v28
	v_add_f32_e32 v21, v21, v56
	v_fma_f32 v22, v18, s7, -v29
	v_add_f32_e32 v21, v22, v21
	v_fma_f32 v22, v34, s11, -v63
	v_add_f32_e32 v21, v22, v21
	v_fma_f32 v22, v35, s10, -v64
	v_fmac_f32_e32 v65, 0x3f62ad3f, v16
	v_add_f32_e32 v21, v22, v21
	v_add_f32_e32 v22, v65, v57
	v_fmac_f32_e32 v66, 0xbf3f9e67, v8
	v_add_f32_e32 v22, v66, v22
	v_fmac_f32_e32 v67, 0x3f116cb1, v33
	;; [unrolled: 2-line block ×3, first 2 shown]
	v_add_f32_e32 v28, v68, v22
	v_fma_f32 v22, v60, s12, -v69
	v_fmac_f32_e32 v70, 0x3df6dbef, v61
	v_add_f32_e32 v22, v22, v21
	v_add_f32_e32 v21, v70, v28
	v_fma_f32 v28, v17, s12, -v71
	v_add_f32_e32 v15, v28, v15
	v_fma_f32 v19, v18, s11, -v19
	;; [unrolled: 2-line block ×4, first 2 shown]
	v_fmac_f32_e32 v74, 0x3df6dbef, v16
	v_add_f32_e32 v15, v19, v15
	v_add_f32_e32 v19, v74, v47
	v_fmac_f32_e32 v51, 0x3f116cb1, v8
	v_add_f32_e32 v19, v51, v19
	v_fmac_f32_e32 v75, 0xbf788fa5, v33
	v_add_f32_e32 v19, v75, v19
	v_fmac_f32_e32 v76, 0x3f62ad3f, v20
	v_fma_f32 v28, v60, s10, -v77
	v_add_f32_e32 v19, v76, v19
	v_add_f32_e32 v29, v28, v15
	v_fmac_f32_e32 v78, 0xbeb58ec6, v61
	v_fma_f32 v15, v17, s7, -v79
	v_add_f32_e32 v28, v78, v19
	v_add_f32_e32 v15, v15, v23
	v_fma_f32 v19, v18, s13, -v41
	v_add_f32_e32 v15, v19, v15
	v_fma_f32 v19, v34, s12, -v80
	v_add_f32_e32 v15, v19, v15
	v_fma_f32 v19, v35, s6, -v81
	v_fmac_f32_e32 v82, 0xbf3f9e67, v16
	v_add_f32_e32 v15, v19, v15
	v_add_f32_e32 v19, v82, v48
	v_fmac_f32_e32 v52, 0x3f62ad3f, v8
	v_add_f32_e32 v19, v52, v19
	v_fmac_f32_e32 v83, 0x3df6dbef, v33
	v_add_f32_e32 v19, v83, v19
	v_fmac_f32_e32 v84, 0xbf788fa5, v20
	v_fma_f32 v23, v60, s11, -v85
	v_add_f32_e32 v19, v84, v19
	v_add_f32_e32 v37, v23, v15
	v_fmac_f32_e32 v86, 0x3f116cb1, v61
	v_fma_f32 v15, v17, s6, -v87
	v_add_f32_e32 v36, v86, v19
	v_add_f32_e32 v15, v15, v42
	v_fma_f32 v19, v18, s10, -v43
	v_add_f32_e32 v15, v19, v15
	v_fma_f32 v19, v34, s13, -v88
	v_add_f32_e32 v15, v19, v15
	v_fma_f32 v19, v35, s11, -v89
	;; [unrolled: 20-line block ×3, first 2 shown]
	v_add_f32_e32 v15, v19, v15
	v_fma_f32 v23, v60, s13, -v101
	v_add_f32_e32 v41, v23, v15
	v_fma_f32 v15, v17, s11, -v103
	v_fmac_f32_e32 v105, 0x3f116cb1, v16
	v_fmac_f32_e32 v98, 0xbeb58ec6, v16
	v_add_f32_e32 v15, v15, v58
	v_fma_f32 v17, v18, s12, -v46
	v_add_f32_e32 v16, v105, v59
	v_fmac_f32_e32 v55, 0x3df6dbef, v8
	v_add_f32_e32 v19, v98, v50
	v_fmac_f32_e32 v54, 0xbf788fa5, v8
	v_add_f32_e32 v15, v17, v15
	v_fma_f32 v17, v34, s10, -v32
	v_add_f32_e32 v8, v55, v16
	v_fmac_f32_e32 v106, 0xbeb58ec6, v33
	v_add_f32_e32 v19, v54, v19
	;; [unrolled: 6-line block ×3, first 2 shown]
	v_fmac_f32_e32 v100, 0x3df6dbef, v20
	v_add_f32_e32 v15, v17, v15
	v_fma_f32 v17, v60, s6, -v108
	v_add_f32_e32 v8, v107, v8
	v_fmac_f32_e32 v62, 0xbf788fa5, v61
	s_movk_i32 s6, 0x60
	v_add_f32_e32 v19, v100, v19
	v_fmac_f32_e32 v102, 0x3f62ad3f, v61
	v_add_f32_e32 v16, v17, v15
	v_add_f32_e32 v15, v62, v8
	v_mad_u32_u24 v8, v24, s6, v30
	v_add_f32_e32 v40, v102, v19
	ds_write2_b64 v8, v[0:1], v[13:14] offset1:1
	ds_write2_b64 v8, v[11:12], v[9:10] offset0:2 offset1:3
	ds_write2_b64 v8, v[6:7], v[4:5] offset0:4 offset1:5
	ds_write2_b64 v8, v[2:3], v[21:22] offset0:6 offset1:7
	ds_write2_b64 v8, v[28:29], v[36:37] offset0:8 offset1:9
	ds_write2_b64 v8, v[38:39], v[40:41] offset0:10 offset1:11
	ds_write_b64 v8, v[15:16] offset:96
.LBB0_19:
	s_or_b64 exec, exec, s[4:5]
	v_add_u32_e32 v22, 0x75, v24
	s_movk_i32 s4, 0x4f
	v_mul_lo_u16_sdwa v0, v24, s4 dst_sel:DWORD dst_unused:UNUSED_PAD src0_sel:BYTE_0 src1_sel:DWORD
	v_mul_lo_u16_sdwa v1, v22, s4 dst_sel:DWORD dst_unused:UNUSED_PAD src0_sel:BYTE_0 src1_sel:DWORD
	v_lshrrev_b16_e32 v20, 10, v0
	v_lshrrev_b16_e32 v23, 10, v1
	v_mul_lo_u16_e32 v0, 13, v20
	v_mul_lo_u16_e32 v5, 13, v23
	v_sub_u16_e32 v21, v24, v0
	v_mov_b32_e32 v4, 4
	v_sub_u16_e32 v28, v22, v5
	v_lshlrev_b32_sdwa v0, v4, v21 dst_sel:DWORD dst_unused:UNUSED_PAD src0_sel:DWORD src1_sel:BYTE_0
	v_lshlrev_b32_sdwa v4, v4, v28 dst_sel:DWORD dst_unused:UNUSED_PAD src0_sel:DWORD src1_sel:BYTE_0
	s_waitcnt lgkmcnt(0)
	s_barrier
	global_load_dwordx4 v[0:3], v0, s[8:9]
	s_movk_i32 s4, 0xa5
	global_load_dwordx4 v[4:7], v4, s[8:9]
	ds_read2_b64 v[8:11], v30 offset0:117 offset1:234
	ds_read2_b64 v[12:15], v31 offset0:95 offset1:212
	ds_read2_b32 v[16:17], v30 offset1:1
	ds_read_b64 v[18:19], v30 offset:4680
	v_mul_lo_u16_sdwa v31, v24, s4 dst_sel:DWORD dst_unused:UNUSED_PAD src0_sel:BYTE_0 src1_sel:DWORD
	v_sub_u16_sdwa v32, v24, v31 dst_sel:DWORD dst_unused:UNUSED_PAD src0_sel:DWORD src1_sel:BYTE_1
	v_mov_b32_e32 v29, 3
	v_lshrrev_b16_e32 v32, 1, v32
	v_mul_u32_u24_e32 v20, 0x138, v20
	v_mul_u32_u24_e32 v23, 0x138, v23
	v_and_b32_e32 v32, 0x7f, v32
	v_lshlrev_b32_sdwa v21, v29, v21 dst_sel:DWORD dst_unused:UNUSED_PAD src0_sel:DWORD src1_sel:BYTE_0
	v_lshlrev_b32_sdwa v28, v29, v28 dst_sel:DWORD dst_unused:UNUSED_PAD src0_sel:DWORD src1_sel:BYTE_0
	v_add_u16_sdwa v31, v32, v31 dst_sel:DWORD dst_unused:UNUSED_PAD src0_sel:DWORD src1_sel:BYTE_1
	v_add3_u32 v20, 0, v20, v21
	v_add3_u32 v21, 0, v23, v28
	s_waitcnt vmcnt(0) lgkmcnt(0)
	s_barrier
	s_movk_i32 s4, 0x750
	v_mul_f32_e32 v23, v1, v11
	v_mul_f32_e32 v1, v1, v10
	;; [unrolled: 1-line block ×8, first 2 shown]
	v_fma_f32 v10, v0, v10, -v23
	v_fmac_f32_e32 v1, v0, v11
	v_fma_f32 v0, v2, v14, -v28
	v_fmac_f32_e32 v3, v2, v15
	;; [unrolled: 2-line block ×4, first 2 shown]
	v_add_f32_e32 v11, v10, v0
	v_add_f32_e32 v14, v1, v3
	;; [unrolled: 1-line block ×3, first 2 shown]
	v_sub_f32_e32 v19, v5, v7
	v_add_f32_e32 v23, v9, v5
	v_add_f32_e32 v5, v5, v7
	;; [unrolled: 1-line block ×3, first 2 shown]
	v_sub_f32_e32 v12, v1, v3
	v_add_f32_e32 v13, v17, v1
	v_sub_f32_e32 v10, v10, v0
	v_add_f32_e32 v15, v8, v2
	v_fma_f32 v16, -0.5, v11, v16
	v_fmac_f32_e32 v17, -0.5, v14
	v_fma_f32 v8, -0.5, v18, v8
	v_fmac_f32_e32 v9, -0.5, v5
	v_sub_f32_e32 v28, v2, v4
	v_add_f32_e32 v0, v6, v0
	v_add_f32_e32 v1, v13, v3
	v_add_f32_e32 v2, v15, v4
	v_add_f32_e32 v3, v23, v7
	v_mov_b32_e32 v4, v16
	v_fmac_f32_e32 v16, 0xbf5db3d7, v12
	v_mov_b32_e32 v5, v17
	v_fmac_f32_e32 v17, 0x3f5db3d7, v10
	v_mov_b32_e32 v6, v8
	v_mov_b32_e32 v7, v9
	v_fmac_f32_e32 v8, 0xbf5db3d7, v19
	v_fmac_f32_e32 v9, 0x3f5db3d7, v28
	;; [unrolled: 1-line block ×6, first 2 shown]
	ds_write_b64 v20, v[16:17] offset:208
	ds_write2_b64 v20, v[0:1], v[4:5] offset1:13
	ds_write2_b64 v21, v[2:3], v[6:7] offset1:13
	ds_write_b64 v21, v[8:9] offset:208
	v_lshrrev_b16_e32 v0, 5, v31
	v_and_b32_e32 v23, 7, v0
	v_mul_lo_u16_e32 v0, 39, v23
	v_sub_u16_e32 v28, v24, v0
	v_mov_b32_e32 v0, 5
	v_mul_u32_u24_sdwa v0, v28, v0 dst_sel:DWORD dst_unused:UNUSED_PAD src0_sel:BYTE_0 src1_sel:DWORD
	v_lshlrev_b32_e32 v8, 3, v0
	s_waitcnt lgkmcnt(0)
	s_barrier
	global_load_dwordx4 v[0:3], v8, s[8:9] offset:208
	global_load_dwordx4 v[4:7], v8, s[8:9] offset:224
	global_load_dwordx2 v[20:21], v8, s[8:9] offset:240
	v_add_u32_e32 v31, 0xc00, v30
	ds_read2_b64 v[8:11], v30 offset1:117
	ds_read2_b64 v[12:15], v25 offset0:106 offset1:223
	ds_read2_b64 v[16:19], v31 offset0:84 offset1:201
	s_waitcnt vmcnt(0) lgkmcnt(0)
	s_barrier
	v_mul_f32_e32 v32, v1, v11
	v_mul_f32_e32 v33, v1, v10
	;; [unrolled: 1-line block ×10, first 2 shown]
	v_fma_f32 v10, v0, v10, -v32
	v_fmac_f32_e32 v33, v0, v11
	v_fma_f32 v0, v2, v12, -v1
	v_fma_f32 v1, v4, v14, -v34
	v_fmac_f32_e32 v5, v4, v15
	v_fma_f32 v4, v20, v18, -v36
	v_fmac_f32_e32 v21, v20, v19
	v_fmac_f32_e32 v3, v2, v13
	v_fma_f32 v2, v6, v16, -v35
	v_fmac_f32_e32 v7, v6, v17
	v_add_f32_e32 v15, v1, v4
	v_sub_f32_e32 v16, v5, v21
	v_add_f32_e32 v17, v33, v5
	v_add_f32_e32 v5, v5, v21
	;; [unrolled: 1-line block ×4, first 2 shown]
	v_sub_f32_e32 v12, v3, v7
	v_add_f32_e32 v13, v9, v3
	v_add_f32_e32 v3, v3, v7
	v_sub_f32_e32 v14, v0, v2
	v_add_f32_e32 v0, v10, v1
	v_fmac_f32_e32 v10, -0.5, v15
	v_fmac_f32_e32 v33, -0.5, v5
	v_sub_f32_e32 v18, v1, v4
	v_add_f32_e32 v2, v6, v2
	v_fma_f32 v6, -0.5, v11, v8
	v_fma_f32 v8, -0.5, v3, v9
	v_mov_b32_e32 v5, v10
	v_mov_b32_e32 v9, v33
	v_add_f32_e32 v7, v13, v7
	v_add_f32_e32 v3, v0, v4
	;; [unrolled: 1-line block ×3, first 2 shown]
	v_mov_b32_e32 v11, v6
	v_mov_b32_e32 v13, v8
	v_fmac_f32_e32 v10, 0xbf5db3d7, v16
	v_fmac_f32_e32 v33, 0x3f5db3d7, v18
	;; [unrolled: 1-line block ×6, first 2 shown]
	v_add_f32_e32 v0, v2, v3
	v_add_f32_e32 v1, v7, v4
	v_sub_f32_e32 v2, v2, v3
	v_sub_f32_e32 v3, v7, v4
	v_fmac_f32_e32 v11, 0x3f5db3d7, v12
	v_fmac_f32_e32 v13, 0xbf5db3d7, v14
	v_mul_f32_e32 v7, -0.5, v10
	v_mul_f32_e32 v12, -0.5, v33
	v_mul_f32_e32 v14, 0x3f5db3d7, v9
	v_mul_f32_e32 v15, 0xbf5db3d7, v5
	v_fmac_f32_e32 v7, 0x3f5db3d7, v33
	v_fmac_f32_e32 v12, 0xbf5db3d7, v10
	v_fmac_f32_e32 v14, 0.5, v5
	v_fmac_f32_e32 v15, 0.5, v9
	v_add_f32_e32 v4, v6, v7
	v_add_f32_e32 v5, v8, v12
	v_sub_f32_e32 v6, v6, v7
	v_sub_f32_e32 v7, v8, v12
	v_add_f32_e32 v8, v11, v14
	v_add_f32_e32 v9, v13, v15
	v_sub_f32_e32 v10, v11, v14
	v_sub_f32_e32 v11, v13, v15
	v_mul_u32_u24_sdwa v12, v23, s4 dst_sel:DWORD dst_unused:UNUSED_PAD src0_sel:WORD_0 src1_sel:DWORD
	v_lshlrev_b32_sdwa v13, v29, v28 dst_sel:DWORD dst_unused:UNUSED_PAD src0_sel:DWORD src1_sel:BYTE_0
	v_add3_u32 v12, 0, v12, v13
	ds_write2_b64 v12, v[0:1], v[8:9] offset1:39
	ds_write2_b64 v12, v[4:5], v[2:3] offset0:78 offset1:117
	ds_write2_b64 v12, v[10:11], v[6:7] offset0:156 offset1:195
	v_lshlrev_b32_e32 v0, 1, v24
	v_mov_b32_e32 v1, 0
	v_lshlrev_b64 v[2:3], 3, v[0:1]
	v_lshlrev_b32_e32 v0, 1, v22
	v_mov_b32_e32 v8, s9
	v_add_co_u32_e32 v2, vcc, s8, v2
	v_lshlrev_b64 v[6:7], 3, v[0:1]
	v_addc_co_u32_e32 v3, vcc, v8, v3, vcc
	v_add_co_u32_e32 v6, vcc, s8, v6
	v_addc_co_u32_e32 v7, vcc, v8, v7, vcc
	s_waitcnt lgkmcnt(0)
	s_barrier
	global_load_dwordx4 v[2:5], v[2:3], off offset:1768
	s_nop 0
	global_load_dwordx4 v[6:9], v[6:7], off offset:1768
	ds_read2_b64 v[10:13], v30 offset1:117
	ds_read2_b64 v[14:17], v25 offset0:106 offset1:223
	ds_read2_b64 v[18:21], v31 offset0:84 offset1:201
	s_waitcnt vmcnt(0) lgkmcnt(0)
	s_barrier
	v_mul_f32_e32 v0, v3, v15
	v_mul_f32_e32 v3, v3, v14
	;; [unrolled: 1-line block ×8, first 2 shown]
	v_fma_f32 v0, v2, v14, -v0
	v_fmac_f32_e32 v3, v2, v15
	v_fma_f32 v2, v4, v18, -v22
	v_fmac_f32_e32 v5, v4, v19
	;; [unrolled: 2-line block ×4, first 2 shown]
	v_add_f32_e32 v14, v0, v2
	v_add_f32_e32 v16, v3, v11
	;; [unrolled: 1-line block ×6, first 2 shown]
	v_sub_f32_e32 v15, v3, v5
	v_sub_f32_e32 v0, v0, v2
	v_add_f32_e32 v18, v12, v4
	v_sub_f32_e32 v20, v7, v9
	v_add_f32_e32 v21, v13, v7
	v_sub_f32_e32 v23, v4, v6
	v_fma_f32 v4, -0.5, v14, v10
	v_add_f32_e32 v3, v16, v5
	v_fma_f32 v5, -0.5, v17, v11
	v_fma_f32 v12, -0.5, v19, v12
	v_fmac_f32_e32 v13, -0.5, v22
	v_add_f32_e32 v2, v8, v2
	v_add_f32_e32 v6, v18, v6
	;; [unrolled: 1-line block ×3, first 2 shown]
	v_mov_b32_e32 v8, v4
	v_fmac_f32_e32 v4, 0xbf5db3d7, v15
	v_mov_b32_e32 v9, v5
	v_fmac_f32_e32 v5, 0x3f5db3d7, v0
	;; [unrolled: 2-line block ×4, first 2 shown]
	ds_write2_b64 v30, v[2:3], v[6:7] offset1:117
	v_fmac_f32_e32 v8, 0x3f5db3d7, v15
	v_fmac_f32_e32 v9, 0xbf5db3d7, v0
	v_fmac_f32_e32 v10, 0x3f5db3d7, v20
	v_fmac_f32_e32 v11, 0xbf5db3d7, v23
	ds_write2_b64 v31, v[4:5], v[12:13] offset0:84 offset1:201
	ds_write2_b64 v25, v[8:9], v[10:11] offset0:106 offset1:223
	s_waitcnt lgkmcnt(0)
	s_barrier
	s_and_saveexec_b64 s[4:5], s[0:1]
	s_cbranch_execz .LBB0_21
; %bb.20:
	v_lshl_add_u32 v8, v24, 3, 0
	v_mov_b32_e32 v25, v1
	ds_read2_b64 v[2:5], v8 offset1:117
	v_mov_b32_e32 v0, s3
	v_add_co_u32_e32 v9, vcc, s2, v26
	v_lshlrev_b64 v[6:7], 3, v[24:25]
	v_addc_co_u32_e32 v10, vcc, v0, v27, vcc
	v_add_co_u32_e32 v6, vcc, v9, v6
	v_addc_co_u32_e32 v7, vcc, v10, v7, vcc
	v_add_u32_e32 v0, 0x75, v24
	s_waitcnt lgkmcnt(0)
	global_store_dwordx2 v[6:7], v[2:3], off
	v_lshlrev_b64 v[2:3], 3, v[0:1]
	v_add_u32_e32 v0, 0xea, v24
	v_add_co_u32_e32 v2, vcc, v9, v2
	v_addc_co_u32_e32 v3, vcc, v10, v3, vcc
	global_store_dwordx2 v[2:3], v[4:5], off
	v_add_u32_e32 v2, 0x400, v8
	ds_read2_b64 v[2:5], v2 offset0:106 offset1:223
	v_lshlrev_b64 v[6:7], 3, v[0:1]
	v_add_u32_e32 v0, 0x15f, v24
	v_add_co_u32_e32 v6, vcc, v9, v6
	v_addc_co_u32_e32 v7, vcc, v10, v7, vcc
	s_waitcnt lgkmcnt(0)
	global_store_dwordx2 v[6:7], v[2:3], off
	v_lshlrev_b64 v[2:3], 3, v[0:1]
	v_add_u32_e32 v0, 0x1d4, v24
	v_add_co_u32_e32 v2, vcc, v9, v2
	v_addc_co_u32_e32 v3, vcc, v10, v3, vcc
	global_store_dwordx2 v[2:3], v[4:5], off
	v_add_u32_e32 v2, 0xc00, v8
	v_lshlrev_b64 v[6:7], 3, v[0:1]
	ds_read2_b64 v[2:5], v2 offset0:84 offset1:201
	v_add_u32_e32 v0, 0x249, v24
	v_add_co_u32_e32 v6, vcc, v9, v6
	v_lshlrev_b64 v[0:1], 3, v[0:1]
	v_addc_co_u32_e32 v7, vcc, v10, v7, vcc
	v_add_co_u32_e32 v0, vcc, v9, v0
	v_addc_co_u32_e32 v1, vcc, v10, v1, vcc
	s_waitcnt lgkmcnt(0)
	global_store_dwordx2 v[6:7], v[2:3], off
	global_store_dwordx2 v[0:1], v[4:5], off
.LBB0_21:
	s_endpgm
	.section	.rodata,"a",@progbits
	.p2align	6, 0x0
	.amdhsa_kernel fft_rtc_fwd_len702_factors_13_3_6_3_wgs_117_tpt_117_halfLds_sp_ip_CI_unitstride_sbrr_C2R_dirReg
		.amdhsa_group_segment_fixed_size 0
		.amdhsa_private_segment_fixed_size 0
		.amdhsa_kernarg_size 88
		.amdhsa_user_sgpr_count 6
		.amdhsa_user_sgpr_private_segment_buffer 1
		.amdhsa_user_sgpr_dispatch_ptr 0
		.amdhsa_user_sgpr_queue_ptr 0
		.amdhsa_user_sgpr_kernarg_segment_ptr 1
		.amdhsa_user_sgpr_dispatch_id 0
		.amdhsa_user_sgpr_flat_scratch_init 0
		.amdhsa_user_sgpr_private_segment_size 0
		.amdhsa_uses_dynamic_stack 0
		.amdhsa_system_sgpr_private_segment_wavefront_offset 0
		.amdhsa_system_sgpr_workgroup_id_x 1
		.amdhsa_system_sgpr_workgroup_id_y 0
		.amdhsa_system_sgpr_workgroup_id_z 0
		.amdhsa_system_sgpr_workgroup_info 0
		.amdhsa_system_vgpr_workitem_id 0
		.amdhsa_next_free_vgpr 109
		.amdhsa_next_free_sgpr 22
		.amdhsa_reserve_vcc 1
		.amdhsa_reserve_flat_scratch 0
		.amdhsa_float_round_mode_32 0
		.amdhsa_float_round_mode_16_64 0
		.amdhsa_float_denorm_mode_32 3
		.amdhsa_float_denorm_mode_16_64 3
		.amdhsa_dx10_clamp 1
		.amdhsa_ieee_mode 1
		.amdhsa_fp16_overflow 0
		.amdhsa_exception_fp_ieee_invalid_op 0
		.amdhsa_exception_fp_denorm_src 0
		.amdhsa_exception_fp_ieee_div_zero 0
		.amdhsa_exception_fp_ieee_overflow 0
		.amdhsa_exception_fp_ieee_underflow 0
		.amdhsa_exception_fp_ieee_inexact 0
		.amdhsa_exception_int_div_zero 0
	.end_amdhsa_kernel
	.text
.Lfunc_end0:
	.size	fft_rtc_fwd_len702_factors_13_3_6_3_wgs_117_tpt_117_halfLds_sp_ip_CI_unitstride_sbrr_C2R_dirReg, .Lfunc_end0-fft_rtc_fwd_len702_factors_13_3_6_3_wgs_117_tpt_117_halfLds_sp_ip_CI_unitstride_sbrr_C2R_dirReg
                                        ; -- End function
	.section	.AMDGPU.csdata,"",@progbits
; Kernel info:
; codeLenInByte = 6436
; NumSgprs: 26
; NumVgprs: 109
; ScratchSize: 0
; MemoryBound: 0
; FloatMode: 240
; IeeeMode: 1
; LDSByteSize: 0 bytes/workgroup (compile time only)
; SGPRBlocks: 3
; VGPRBlocks: 27
; NumSGPRsForWavesPerEU: 26
; NumVGPRsForWavesPerEU: 109
; Occupancy: 2
; WaveLimiterHint : 1
; COMPUTE_PGM_RSRC2:SCRATCH_EN: 0
; COMPUTE_PGM_RSRC2:USER_SGPR: 6
; COMPUTE_PGM_RSRC2:TRAP_HANDLER: 0
; COMPUTE_PGM_RSRC2:TGID_X_EN: 1
; COMPUTE_PGM_RSRC2:TGID_Y_EN: 0
; COMPUTE_PGM_RSRC2:TGID_Z_EN: 0
; COMPUTE_PGM_RSRC2:TIDIG_COMP_CNT: 0
	.type	__hip_cuid_ef6204678b6d06b1,@object ; @__hip_cuid_ef6204678b6d06b1
	.section	.bss,"aw",@nobits
	.globl	__hip_cuid_ef6204678b6d06b1
__hip_cuid_ef6204678b6d06b1:
	.byte	0                               ; 0x0
	.size	__hip_cuid_ef6204678b6d06b1, 1

	.ident	"AMD clang version 19.0.0git (https://github.com/RadeonOpenCompute/llvm-project roc-6.4.0 25133 c7fe45cf4b819c5991fe208aaa96edf142730f1d)"
	.section	".note.GNU-stack","",@progbits
	.addrsig
	.addrsig_sym __hip_cuid_ef6204678b6d06b1
	.amdgpu_metadata
---
amdhsa.kernels:
  - .args:
      - .actual_access:  read_only
        .address_space:  global
        .offset:         0
        .size:           8
        .value_kind:     global_buffer
      - .offset:         8
        .size:           8
        .value_kind:     by_value
      - .actual_access:  read_only
        .address_space:  global
        .offset:         16
        .size:           8
        .value_kind:     global_buffer
      - .actual_access:  read_only
        .address_space:  global
        .offset:         24
        .size:           8
        .value_kind:     global_buffer
      - .offset:         32
        .size:           8
        .value_kind:     by_value
      - .actual_access:  read_only
        .address_space:  global
        .offset:         40
        .size:           8
        .value_kind:     global_buffer
      - .actual_access:  read_only
        .address_space:  global
        .offset:         48
        .size:           8
        .value_kind:     global_buffer
      - .offset:         56
        .size:           4
        .value_kind:     by_value
      - .actual_access:  read_only
        .address_space:  global
        .offset:         64
        .size:           8
        .value_kind:     global_buffer
      - .actual_access:  read_only
        .address_space:  global
        .offset:         72
        .size:           8
        .value_kind:     global_buffer
      - .address_space:  global
        .offset:         80
        .size:           8
        .value_kind:     global_buffer
    .group_segment_fixed_size: 0
    .kernarg_segment_align: 8
    .kernarg_segment_size: 88
    .language:       OpenCL C
    .language_version:
      - 2
      - 0
    .max_flat_workgroup_size: 117
    .name:           fft_rtc_fwd_len702_factors_13_3_6_3_wgs_117_tpt_117_halfLds_sp_ip_CI_unitstride_sbrr_C2R_dirReg
    .private_segment_fixed_size: 0
    .sgpr_count:     26
    .sgpr_spill_count: 0
    .symbol:         fft_rtc_fwd_len702_factors_13_3_6_3_wgs_117_tpt_117_halfLds_sp_ip_CI_unitstride_sbrr_C2R_dirReg.kd
    .uniform_work_group_size: 1
    .uses_dynamic_stack: false
    .vgpr_count:     109
    .vgpr_spill_count: 0
    .wavefront_size: 64
amdhsa.target:   amdgcn-amd-amdhsa--gfx906
amdhsa.version:
  - 1
  - 2
...

	.end_amdgpu_metadata
